;; amdgpu-corpus repo=ROCm/rocFFT kind=compiled arch=gfx1030 opt=O3
	.text
	.amdgcn_target "amdgcn-amd-amdhsa--gfx1030"
	.amdhsa_code_object_version 6
	.protected	bluestein_single_fwd_len1000_dim1_dp_op_CI_CI ; -- Begin function bluestein_single_fwd_len1000_dim1_dp_op_CI_CI
	.globl	bluestein_single_fwd_len1000_dim1_dp_op_CI_CI
	.p2align	8
	.type	bluestein_single_fwd_len1000_dim1_dp_op_CI_CI,@function
bluestein_single_fwd_len1000_dim1_dp_op_CI_CI: ; @bluestein_single_fwd_len1000_dim1_dp_op_CI_CI
; %bb.0:
	s_load_dwordx4 s[12:15], s[4:5], 0x28
	v_mul_u32_u24_e32 v1, 0x290, v0
	v_mov_b32_e32 v113, 0
	s_mov_b32 s0, exec_lo
	v_lshrrev_b32_e32 v1, 16, v1
	v_add_nc_u32_e32 v112, s6, v1
	s_waitcnt lgkmcnt(0)
	v_cmpx_gt_u64_e64 s[12:13], v[112:113]
	s_cbranch_execz .LBB0_2
; %bb.1:
	s_clause 0x1
	s_load_dwordx4 s[0:3], s[4:5], 0x18
	s_load_dwordx4 s[8:11], s[4:5], 0x0
	v_mul_lo_u16 v1, 0x64, v1
	s_mov_b32 s13, 0xbfee6f0e
	s_mov_b32 s21, 0xbfd3c6ef
	;; [unrolled: 1-line block ×3, first 2 shown]
	s_load_dwordx2 s[4:5], s[4:5], 0x38
	v_sub_nc_u16 v52, v0, v1
	v_and_b32_e32 v116, 0xffff, v52
	v_lshlrev_b32_e32 v115, 4, v116
	s_waitcnt lgkmcnt(0)
	s_load_dwordx4 s[16:19], s[0:1], 0x0
	s_clause 0x1
	global_load_dwordx4 v[4:7], v115, s[8:9]
	global_load_dwordx4 v[0:3], v115, s[8:9] offset:1600
	v_add_co_u32 v117, s0, s8, v115
	v_add_co_ci_u32_e64 v118, null, s9, 0, s0
	s_mov_b32 s8, 0x4755a5e
	v_add_co_u32 v8, vcc_lo, 0x800, v117
	v_add_co_ci_u32_e32 v9, vcc_lo, 0, v118, vcc_lo
	v_add_co_u32 v10, vcc_lo, 0x1000, v117
	v_add_co_ci_u32_e32 v11, vcc_lo, 0, v118, vcc_lo
	;; [unrolled: 2-line block ×3, first 2 shown]
	s_waitcnt lgkmcnt(0)
	v_mad_u64_u32 v[16:17], null, s18, v112, 0
	v_mad_u64_u32 v[26:27], null, s16, v116, 0
	v_add_co_u32 v24, vcc_lo, 0x2000, v117
	v_add_co_ci_u32_e32 v25, vcc_lo, 0, v118, vcc_lo
	v_mov_b32_e32 v12, v17
	v_add_co_u32 v28, vcc_lo, 0x2800, v117
	v_add_co_ci_u32_e32 v29, vcc_lo, 0, v118, vcc_lo
	v_mad_u64_u32 v[12:13], null, s19, v112, v[12:13]
	v_mov_b32_e32 v13, v27
	v_add_co_u32 v32, vcc_lo, 0x3000, v117
	v_add_co_ci_u32_e32 v33, vcc_lo, 0, v118, vcc_lo
	v_mad_u64_u32 v[20:21], null, s17, v116, v[13:14]
	v_mov_b32_e32 v17, v12
	v_add_co_u32 v113, vcc_lo, 0x3800, v117
	v_add_co_ci_u32_e32 v114, vcc_lo, 0, v118, vcc_lo
	v_lshlrev_b64 v[30:31], 4, v[16:17]
	v_mov_b32_e32 v27, v20
	s_mul_i32 s0, s17, 0x640
	s_mul_hi_u32 s1, s16, 0x640
	s_mul_i32 s6, s16, 0x640
	s_add_i32 s1, s1, s0
	v_lshlrev_b64 v[26:27], 4, v[26:27]
	v_add_co_u32 v30, vcc_lo, s14, v30
	v_add_co_ci_u32_e32 v31, vcc_lo, s15, v31, vcc_lo
	s_clause 0x1
	global_load_dwordx4 v[12:15], v[8:9], off offset:1152
	global_load_dwordx4 v[8:11], v[10:11], off offset:704
	v_add_co_u32 v34, vcc_lo, v30, v26
	v_add_co_ci_u32_e32 v35, vcc_lo, v31, v27, vcc_lo
	s_clause 0x1
	global_load_dwordx4 v[20:23], v[18:19], off offset:256
	global_load_dwordx4 v[16:19], v[18:19], off offset:1856
	v_add_co_u32 v36, vcc_lo, v34, s6
	v_add_co_ci_u32_e32 v37, vcc_lo, s1, v35, vcc_lo
	global_load_dwordx4 v[40:43], v[34:35], off
	v_add_co_u32 v38, vcc_lo, v36, s6
	v_add_co_ci_u32_e32 v39, vcc_lo, s1, v37, vcc_lo
	s_clause 0x1
	global_load_dwordx4 v[24:27], v[24:25], off offset:1408
	global_load_dwordx4 v[28:31], v[28:29], off offset:960
	v_add_co_u32 v53, vcc_lo, v38, s6
	v_add_co_ci_u32_e32 v54, vcc_lo, s1, v39, vcc_lo
	s_clause 0x1
	global_load_dwordx4 v[44:47], v[36:37], off
	global_load_dwordx4 v[48:51], v[38:39], off
	v_add_co_u32 v34, vcc_lo, v53, s6
	v_add_co_ci_u32_e32 v35, vcc_lo, s1, v54, vcc_lo
	global_load_dwordx4 v[53:56], v[53:54], off
	v_add_co_u32 v36, vcc_lo, v34, s6
	v_add_co_ci_u32_e32 v37, vcc_lo, s1, v35, vcc_lo
	;; [unrolled: 3-line block ×5, first 2 shown]
	s_mov_b32 s9, 0x3fe2cf23
	v_add_co_u32 v77, vcc_lo, v36, s6
	v_add_co_ci_u32_e32 v78, vcc_lo, s1, v37, vcc_lo
	global_load_dwordx4 v[69:72], v[34:35], off
	global_load_dwordx4 v[32:35], v[32:33], off offset:512
	global_load_dwordx4 v[73:76], v[36:37], off
	global_load_dwordx4 v[36:39], v[113:114], off offset:64
	global_load_dwordx4 v[77:80], v[77:78], off
	s_load_dwordx4 s[0:3], s[2:3], 0x0
	s_mov_b32 s6, 0x134454ff
	s_mov_b32 s7, 0x3fee6f0e
	;; [unrolled: 1-line block ×11, first 2 shown]
	s_waitcnt vmcnt(13)
	v_mul_f64 v[81:82], v[42:43], v[6:7]
	v_mul_f64 v[83:84], v[40:41], v[6:7]
	s_waitcnt vmcnt(10)
	v_mul_f64 v[85:86], v[46:47], v[2:3]
	v_mul_f64 v[87:88], v[44:45], v[2:3]
	;; [unrolled: 3-line block ×5, first 2 shown]
	v_fma_f64 v[40:41], v[40:41], v[4:5], v[81:82]
	v_fma_f64 v[42:43], v[42:43], v[4:5], -v[83:84]
	s_waitcnt vmcnt(6)
	v_mul_f64 v[101:102], v[63:64], v[18:19]
	v_mul_f64 v[103:104], v[61:62], v[18:19]
	s_waitcnt vmcnt(5)
	v_mul_f64 v[105:106], v[67:68], v[26:27]
	v_mul_f64 v[107:108], v[65:66], v[26:27]
	v_fma_f64 v[44:45], v[44:45], v[0:1], v[85:86]
	v_fma_f64 v[46:47], v[46:47], v[0:1], -v[87:88]
	v_fma_f64 v[48:49], v[48:49], v[12:13], v[89:90]
	v_fma_f64 v[50:51], v[50:51], v[12:13], -v[91:92]
	s_waitcnt vmcnt(4)
	v_mul_f64 v[109:110], v[71:72], v[30:31]
	v_mul_f64 v[119:120], v[69:70], v[30:31]
	s_waitcnt vmcnt(2)
	v_mul_f64 v[121:122], v[75:76], v[34:35]
	v_mul_f64 v[123:124], v[73:74], v[34:35]
	;; [unrolled: 3-line block ×3, first 2 shown]
	v_fma_f64 v[53:54], v[53:54], v[8:9], v[93:94]
	v_fma_f64 v[55:56], v[55:56], v[8:9], -v[95:96]
	v_fma_f64 v[57:58], v[57:58], v[20:21], v[97:98]
	v_fma_f64 v[59:60], v[59:60], v[20:21], -v[99:100]
	v_and_b32_e32 v89, 0xff, v52
	v_fma_f64 v[61:62], v[61:62], v[16:17], v[101:102]
	v_fma_f64 v[63:64], v[63:64], v[16:17], -v[103:104]
	v_mul_lo_u16 v111, 0xcd, v89
	v_fma_f64 v[65:66], v[65:66], v[24:25], v[105:106]
	v_fma_f64 v[67:68], v[67:68], v[24:25], -v[107:108]
	v_fma_f64 v[69:70], v[69:70], v[28:29], v[109:110]
	v_fma_f64 v[71:72], v[71:72], v[28:29], -v[119:120]
	;; [unrolled: 2-line block ×4, first 2 shown]
	ds_write_b128 v115, v[40:43]
	ds_write_b128 v115, v[44:47] offset:1600
	ds_write_b128 v115, v[48:51] offset:3200
	;; [unrolled: 1-line block ×9, first 2 shown]
	s_waitcnt lgkmcnt(0)
	s_barrier
	buffer_gl0_inv
	ds_read_b128 v[48:51], v115 offset:8000
	ds_read_b128 v[44:47], v115 offset:11200
	;; [unrolled: 1-line block ×4, first 2 shown]
	ds_read_b128 v[57:60], v115
	ds_read_b128 v[61:64], v115 offset:3200
	ds_read_b128 v[65:68], v115 offset:6400
	;; [unrolled: 1-line block ×5, first 2 shown]
	s_waitcnt lgkmcnt(0)
	s_barrier
	buffer_gl0_inv
	v_add_f64 v[89:90], v[57:58], v[61:62]
	v_add_f64 v[81:82], v[48:49], v[44:45]
	;; [unrolled: 1-line block ×5, first 2 shown]
	v_add_f64 v[99:100], v[55:56], -v[42:43]
	v_add_f64 v[101:102], v[50:51], -v[46:47]
	;; [unrolled: 1-line block ×4, first 2 shown]
	v_add_f64 v[93:94], v[65:66], v[69:70]
	v_add_f64 v[95:96], v[61:62], v[73:74]
	;; [unrolled: 1-line block ×4, first 2 shown]
	v_add_f64 v[127:128], v[53:54], -v[48:49]
	v_add_f64 v[129:130], v[50:51], -v[55:56]
	;; [unrolled: 1-line block ×6, first 2 shown]
	v_add_f64 v[91:92], v[59:60], v[63:64]
	v_add_f64 v[107:108], v[63:64], -v[75:76]
	v_add_f64 v[109:110], v[61:62], -v[65:66]
	;; [unrolled: 1-line block ×3, first 2 shown]
	v_fma_f64 v[81:82], v[81:82], -0.5, v[77:78]
	v_fma_f64 v[85:86], v[85:86], -0.5, v[77:78]
	;; [unrolled: 1-line block ×4, first 2 shown]
	v_add_f64 v[77:78], v[77:78], v[53:54]
	v_add_f64 v[53:54], v[48:49], -v[53:54]
	v_add_f64 v[79:80], v[79:80], v[55:56]
	v_add_f64 v[55:56], v[55:56], -v[50:51]
	v_add_f64 v[61:62], v[61:62], -v[73:74]
	;; [unrolled: 1-line block ×6, first 2 shown]
	v_fma_f64 v[93:94], v[93:94], -0.5, v[57:58]
	v_add_f64 v[65:66], v[89:90], v[65:66]
	v_fma_f64 v[57:58], v[95:96], -0.5, v[57:58]
	v_fma_f64 v[89:90], v[97:98], -0.5, v[59:60]
	;; [unrolled: 1-line block ×3, first 2 shown]
	v_add_f64 v[95:96], v[127:128], v[131:132]
	v_add_f64 v[97:98], v[129:130], v[135:136]
	v_add_f64 v[123:124], v[63:64], -v[67:68]
	v_add_f64 v[63:64], v[67:68], -v[63:64]
	v_fma_f64 v[137:138], v[99:100], s[6:7], v[81:82]
	v_fma_f64 v[141:142], v[101:102], s[6:7], v[85:86]
	;; [unrolled: 1-line block ×7, first 2 shown]
	v_add_f64 v[53:54], v[53:54], v[133:134]
	v_fma_f64 v[87:88], v[119:120], s[12:13], v[87:88]
	v_add_f64 v[55:56], v[55:56], v[143:144]
	v_add_f64 v[67:68], v[91:92], v[67:68]
	;; [unrolled: 1-line block ×4, first 2 shown]
	v_add_f64 v[153:154], v[75:76], -v[71:72]
	v_add_f64 v[77:78], v[109:110], v[149:150]
	v_add_f64 v[79:80], v[121:122], v[151:152]
	v_fma_f64 v[91:92], v[107:108], s[6:7], v[93:94]
	v_fma_f64 v[93:94], v[107:108], s[12:13], v[93:94]
	;; [unrolled: 1-line block ×3, first 2 shown]
	v_add_f64 v[155:156], v[71:72], -v[75:76]
	v_fma_f64 v[89:90], v[61:62], s[6:7], v[89:90]
	v_add_f64 v[65:66], v[65:66], v[69:70]
	v_fma_f64 v[105:106], v[101:102], s[8:9], v[137:138]
	v_fma_f64 v[129:130], v[99:100], s[16:17], v[141:142]
	;; [unrolled: 1-line block ×12, first 2 shown]
	v_add_f64 v[67:68], v[67:68], v[71:72]
	v_add_f64 v[48:49], v[48:49], v[44:45]
	;; [unrolled: 1-line block ×3, first 2 shown]
	v_lshrrev_b16 v44, 11, v111
	v_fma_f64 v[50:51], v[125:126], s[8:9], v[91:92]
	v_fma_f64 v[69:70], v[125:126], s[16:17], v[93:94]
	;; [unrolled: 1-line block ×3, first 2 shown]
	v_add_f64 v[63:64], v[63:64], v[155:156]
	v_fma_f64 v[89:90], v[147:148], s[8:9], v[89:90]
	v_add_f64 v[65:66], v[65:66], v[73:74]
	v_fma_f64 v[103:104], v[95:96], s[14:15], v[105:106]
	v_fma_f64 v[121:122], v[53:54], s[14:15], v[129:130]
	;; [unrolled: 1-line block ×7, first 2 shown]
	v_add_f64 v[95:96], v[123:124], v[153:154]
	v_fma_f64 v[71:72], v[107:108], s[8:9], v[101:102]
	v_fma_f64 v[93:94], v[61:62], s[16:17], v[119:120]
	;; [unrolled: 1-line block ×5, first 2 shown]
	v_add_f64 v[67:68], v[67:68], v[75:76]
	v_add_f64 v[40:41], v[48:49], v[40:41]
	;; [unrolled: 1-line block ×3, first 2 shown]
	v_fma_f64 v[49:50], v[77:78], s[14:15], v[50:51]
	v_fma_f64 v[75:76], v[77:78], s[14:15], v[69:70]
	v_mul_lo_u16 v45, v44, 10
	v_mul_f64 v[61:62], v[103:104], s[18:19]
	v_mul_f64 v[97:98], v[121:122], s[20:21]
	;; [unrolled: 1-line block ×8, first 2 shown]
	v_fma_f64 v[91:92], v[95:96], s[14:15], v[91:92]
	v_fma_f64 v[77:78], v[79:80], s[14:15], v[71:72]
	;; [unrolled: 1-line block ×6, first 2 shown]
	v_sub_nc_u16 v51, v52, v45
	v_add_f64 v[45:46], v[65:66], v[40:41]
	v_add_f64 v[47:48], v[67:68], v[42:43]
	v_fma_f64 v[73:74], v[55:56], s[8:9], v[61:62]
	v_fma_f64 v[83:84], v[83:84], s[6:7], v[97:98]
	v_fma_f64 v[97:98], v[55:56], s[18:19], v[101:102]
	v_fma_f64 v[87:88], v[53:54], s[14:15], v[87:88]
	v_fma_f64 v[85:86], v[85:86], s[8:9], v[99:100]
	v_fma_f64 v[99:100], v[105:106], s[14:15], v[103:104]
	v_fma_f64 v[101:102], v[121:122], s[12:13], v[107:108]
	v_fma_f64 v[103:104], v[81:82], s[16:17], v[109:110]
	v_add_f64 v[53:54], v[65:66], -v[40:41]
	v_add_f64 v[55:56], v[67:68], -v[42:43]
	v_mov_b32_e32 v41, 4
	v_mul_lo_u16 v42, v52, 10
	v_and_b32_e32 v40, 0xff, v51
	v_mov_b32_e32 v43, 0x64
	v_lshlrev_b32_sdwa v119, v41, v42 dst_sel:DWORD dst_unused:UNUSED_PAD src0_sel:DWORD src1_sel:WORD_0
	v_mad_u64_u32 v[41:42], null, 0x90, v40, s[10:11]
	v_add_f64 v[57:58], v[49:50], v[73:74]
	v_add_f64 v[65:66], v[79:80], v[83:84]
	;; [unrolled: 1-line block ×8, first 2 shown]
	v_add_f64 v[73:74], v[49:50], -v[73:74]
	v_add_f64 v[85:86], v[75:76], -v[85:86]
	;; [unrolled: 1-line block ×8, first 2 shown]
	ds_write_b128 v119, v[45:48]
	ds_write_b128 v119, v[53:56] offset:80
	ds_write_b128 v119, v[57:60] offset:16
	;; [unrolled: 1-line block ×9, first 2 shown]
	s_waitcnt lgkmcnt(0)
	s_barrier
	buffer_gl0_inv
	s_clause 0x8
	global_load_dwordx4 v[80:83], v[41:42], off offset:64
	global_load_dwordx4 v[76:79], v[41:42], off offset:96
	;; [unrolled: 1-line block ×4, first 2 shown]
	global_load_dwordx4 v[88:91], v[41:42], off
	global_load_dwordx4 v[108:111], v[41:42], off offset:16
	global_load_dwordx4 v[104:107], v[41:42], off offset:48
	;; [unrolled: 1-line block ×4, first 2 shown]
	ds_read_b128 v[45:48], v115 offset:8000
	ds_read_b128 v[49:52], v115 offset:11200
	;; [unrolled: 1-line block ×9, first 2 shown]
	ds_read_b128 v[128:131], v115
	s_waitcnt vmcnt(0) lgkmcnt(0)
	s_barrier
	buffer_gl0_inv
	v_mul_f64 v[41:42], v[47:48], v[82:83]
	v_mul_f64 v[73:74], v[45:46], v[82:83]
	v_mul_f64 v[132:133], v[49:50], v[78:79]
	v_mul_f64 v[134:135], v[51:52], v[78:79]
	v_mul_f64 v[136:137], v[55:56], v[86:87]
	v_mul_f64 v[138:139], v[53:54], v[86:87]
	v_mul_f64 v[140:141], v[57:58], v[94:95]
	v_mul_f64 v[142:143], v[59:60], v[94:95]
	v_mul_f64 v[144:145], v[63:64], v[90:91]
	v_mul_f64 v[146:147], v[61:62], v[90:91]
	v_mul_f64 v[148:149], v[67:68], v[110:111]
	v_mul_f64 v[150:151], v[65:66], v[110:111]
	v_mul_f64 v[152:153], v[71:72], v[106:107]
	v_mul_f64 v[154:155], v[69:70], v[106:107]
	v_mul_f64 v[156:157], v[122:123], v[102:103]
	v_mul_f64 v[158:159], v[126:127], v[98:99]
	v_fma_f64 v[41:42], v[45:46], v[80:81], -v[41:42]
	v_fma_f64 v[45:46], v[47:48], v[80:81], v[73:74]
	v_fma_f64 v[47:48], v[51:52], v[76:77], v[132:133]
	v_fma_f64 v[49:50], v[49:50], v[76:77], -v[134:135]
	v_fma_f64 v[51:52], v[53:54], v[84:85], -v[136:137]
	v_fma_f64 v[53:54], v[55:56], v[84:85], v[138:139]
	v_fma_f64 v[55:56], v[59:60], v[92:93], v[140:141]
	v_fma_f64 v[57:58], v[57:58], v[92:93], -v[142:143]
	v_mul_f64 v[59:60], v[120:121], v[102:103]
	v_mul_f64 v[73:74], v[124:125], v[98:99]
	v_fma_f64 v[61:62], v[61:62], v[88:89], -v[144:145]
	v_fma_f64 v[63:64], v[63:64], v[88:89], v[146:147]
	v_fma_f64 v[65:66], v[65:66], v[108:109], -v[148:149]
	v_fma_f64 v[69:70], v[69:70], v[104:105], -v[152:153]
	;; [unrolled: 1-line block ×4, first 2 shown]
	v_fma_f64 v[67:68], v[67:68], v[108:109], v[150:151]
	v_fma_f64 v[71:72], v[71:72], v[104:105], v[154:155]
	v_add_f64 v[132:133], v[45:46], v[47:48]
	v_add_f64 v[134:135], v[41:42], v[49:50]
	v_add_f64 v[144:145], v[41:42], -v[49:50]
	v_add_f64 v[146:147], v[45:46], -v[47:48]
	v_add_f64 v[136:137], v[53:54], v[55:56]
	v_add_f64 v[138:139], v[51:52], v[57:58]
	v_fma_f64 v[59:60], v[122:123], v[100:101], v[59:60]
	v_fma_f64 v[73:74], v[126:127], v[96:97], v[73:74]
	v_add_f64 v[140:141], v[51:52], -v[57:58]
	v_add_f64 v[142:143], v[53:54], -v[55:56]
	;; [unrolled: 1-line block ×4, first 2 shown]
	v_add_f64 v[122:123], v[69:70], v[120:121]
	v_add_f64 v[126:127], v[65:66], v[124:125]
	v_add_f64 v[164:165], v[53:54], -v[45:46]
	v_add_f64 v[166:167], v[55:56], -v[47:48]
	;; [unrolled: 1-line block ×4, first 2 shown]
	v_add_f64 v[152:153], v[128:129], v[65:66]
	v_add_f64 v[154:155], v[130:131], v[67:68]
	v_add_f64 v[188:189], v[65:66], -v[124:125]
	v_add_f64 v[156:157], v[65:66], -v[69:70]
	v_fma_f64 v[132:133], v[132:133], -0.5, v[63:64]
	v_fma_f64 v[134:135], v[134:135], -0.5, v[61:62]
	v_add_f64 v[158:159], v[124:125], -v[120:121]
	v_add_f64 v[190:191], v[69:70], -v[120:121]
	v_fma_f64 v[136:137], v[136:137], -0.5, v[63:64]
	v_fma_f64 v[138:139], v[138:139], -0.5, v[61:62]
	v_add_f64 v[148:149], v[71:72], v[59:60]
	v_add_f64 v[150:151], v[67:68], v[73:74]
	;; [unrolled: 1-line block ×4, first 2 shown]
	v_add_f64 v[51:52], v[41:42], -v[51:52]
	v_add_f64 v[53:54], v[45:46], -v[53:54]
	;; [unrolled: 1-line block ×3, first 2 shown]
	v_fma_f64 v[122:123], v[122:123], -0.5, v[128:129]
	v_fma_f64 v[126:127], v[126:127], -0.5, v[128:129]
	v_add_f64 v[186:187], v[71:72], -v[59:60]
	v_add_f64 v[170:171], v[67:68], -v[71:72]
	;; [unrolled: 1-line block ×4, first 2 shown]
	v_add_f64 v[69:70], v[152:153], v[69:70]
	v_add_f64 v[71:72], v[154:155], v[71:72]
	v_add_f64 v[178:179], v[73:74], -v[59:60]
	v_fma_f64 v[172:173], v[140:141], s[12:13], v[132:133]
	v_fma_f64 v[174:175], v[142:143], s[6:7], v[134:135]
	;; [unrolled: 1-line block ×8, first 2 shown]
	v_fma_f64 v[128:129], v[148:149], -0.5, v[130:131]
	v_fma_f64 v[130:131], v[150:151], -0.5, v[130:131]
	v_add_f64 v[148:149], v[160:161], v[162:163]
	v_add_f64 v[150:151], v[164:165], v[166:167]
	;; [unrolled: 1-line block ×6, first 2 shown]
	v_add_f64 v[192:193], v[120:121], -v[124:125]
	v_add_f64 v[168:169], v[59:60], -v[73:74]
	v_add_f64 v[61:62], v[156:157], v[158:159]
	v_add_f64 v[69:70], v[69:70], v[120:121]
	;; [unrolled: 1-line block ×4, first 2 shown]
	v_fma_f64 v[160:161], v[144:145], s[16:17], v[172:173]
	v_fma_f64 v[162:163], v[146:147], s[8:9], v[174:175]
	;; [unrolled: 1-line block ×16, first 2 shown]
	v_add_f64 v[41:42], v[41:42], v[49:50]
	v_add_f64 v[45:46], v[45:46], v[47:48]
	;; [unrolled: 1-line block ×6, first 2 shown]
	v_fma_f64 v[152:153], v[150:151], s[14:15], v[160:161]
	v_fma_f64 v[154:155], v[148:149], s[14:15], v[162:163]
	;; [unrolled: 1-line block ×16, first 2 shown]
	v_add_f64 v[41:42], v[41:42], v[57:58]
	v_add_f64 v[55:56], v[45:46], v[55:56]
	v_mul_f64 v[136:137], v[152:153], s[8:9]
	v_mul_f64 v[138:139], v[154:155], s[16:17]
	;; [unrolled: 1-line block ×8, first 2 shown]
	v_fma_f64 v[57:58], v[61:62], s[14:15], v[47:48]
	v_fma_f64 v[73:74], v[63:64], s[14:15], v[49:50]
	;; [unrolled: 1-line block ×6, first 2 shown]
	v_add_f64 v[45:46], v[69:70], v[41:42]
	v_add_f64 v[47:48], v[59:60], v[55:56]
	v_add_f64 v[49:50], v[69:70], -v[41:42]
	v_mul_u32_u24_sdwa v41, v44, v43 dst_sel:DWORD dst_unused:UNUSED_PAD src0_sel:WORD_0 src1_sel:DWORD
	v_fma_f64 v[124:125], v[154:155], s[18:19], v[136:137]
	v_fma_f64 v[136:137], v[152:153], s[18:19], v[138:139]
	;; [unrolled: 1-line block ×10, first 2 shown]
	v_add_f64 v[51:52], v[59:60], -v[55:56]
	v_add_f64 v[53:54], v[57:58], v[124:125]
	v_add_f64 v[55:56], v[73:74], v[136:137]
	v_add_f64 v[57:58], v[57:58], -v[124:125]
	v_add_f64 v[59:60], v[73:74], -v[136:137]
	v_add_f64 v[61:62], v[71:72], v[65:66]
	v_add_f64 v[63:64], v[120:121], v[67:68]
	v_add_f64 v[65:66], v[71:72], -v[65:66]
	v_add_f64 v[69:70], v[126:127], v[128:129]
	v_add_f64 v[71:72], v[130:131], v[142:143]
	;; [unrolled: 3-line block ×3, first 2 shown]
	v_add_f64 v[125:126], v[126:127], -v[128:129]
	v_add_f64 v[127:128], v[130:131], -v[142:143]
	;; [unrolled: 1-line block ×4, first 2 shown]
	v_mad_u64_u32 v[133:134], null, 0x90, v116, s[10:11]
	v_add_lshl_u32 v120, v41, v40, 4
	ds_write_b128 v120, v[45:48]
	ds_write_b128 v120, v[49:52] offset:800
	ds_write_b128 v120, v[53:56] offset:160
	ds_write_b128 v120, v[61:64] offset:320
	ds_write_b128 v120, v[69:72] offset:480
	ds_write_b128 v120, v[121:124] offset:640
	ds_write_b128 v120, v[57:60] offset:960
	ds_write_b128 v120, v[65:68] offset:1120
	ds_write_b128 v120, v[125:128] offset:1280
	ds_write_b128 v120, v[129:132] offset:1440
	s_waitcnt lgkmcnt(0)
	s_barrier
	buffer_gl0_inv
	s_clause 0x8
	global_load_dwordx4 v[44:47], v[133:134], off offset:1504
	global_load_dwordx4 v[40:43], v[133:134], off offset:1536
	;; [unrolled: 1-line block ×9, first 2 shown]
	ds_read_b128 v[121:124], v115 offset:8000
	ds_read_b128 v[125:128], v115 offset:11200
	;; [unrolled: 1-line block ×9, first 2 shown]
	ds_read_b128 v[157:160], v115
	s_waitcnt vmcnt(8) lgkmcnt(9)
	v_mul_f64 v[161:162], v[123:124], v[46:47]
	v_mul_f64 v[163:164], v[121:122], v[46:47]
	s_waitcnt vmcnt(7) lgkmcnt(8)
	v_mul_f64 v[165:166], v[125:126], v[42:43]
	v_mul_f64 v[167:168], v[127:128], v[42:43]
	;; [unrolled: 3-line block ×5, first 2 shown]
	v_mul_f64 v[177:178], v[139:140], v[74:75]
	v_mul_f64 v[179:180], v[137:138], v[74:75]
	;; [unrolled: 1-line block ×8, first 2 shown]
	v_fma_f64 v[121:122], v[121:122], v[44:45], -v[161:162]
	v_fma_f64 v[123:124], v[123:124], v[44:45], v[163:164]
	v_fma_f64 v[127:128], v[127:128], v[40:41], v[165:166]
	v_fma_f64 v[125:126], v[125:126], v[40:41], -v[167:168]
	v_fma_f64 v[129:130], v[129:130], v[48:49], -v[169:170]
	v_fma_f64 v[131:132], v[131:132], v[48:49], v[171:172]
	v_fma_f64 v[135:136], v[135:136], v[56:57], v[173:174]
	v_fma_f64 v[133:134], v[133:134], v[56:57], -v[175:176]
	v_fma_f64 v[153:154], v[153:154], v[52:53], -v[193:194]
	v_fma_f64 v[155:156], v[155:156], v[52:53], v[195:196]
	v_fma_f64 v[137:138], v[137:138], v[72:73], -v[177:178]
	v_fma_f64 v[139:140], v[139:140], v[72:73], v[179:180]
	;; [unrolled: 2-line block ×3, first 2 shown]
	v_fma_f64 v[145:146], v[145:146], v[64:65], -v[185:186]
	v_fma_f64 v[149:150], v[149:150], v[60:61], -v[187:188]
	v_fma_f64 v[147:148], v[147:148], v[64:65], v[189:190]
	v_fma_f64 v[151:152], v[151:152], v[60:61], v[191:192]
	v_add_f64 v[161:162], v[123:124], v[127:128]
	v_add_f64 v[163:164], v[121:122], v[125:126]
	v_add_f64 v[181:182], v[121:122], -v[125:126]
	v_add_f64 v[183:184], v[123:124], -v[127:128]
	v_add_f64 v[165:166], v[131:132], v[135:136]
	v_add_f64 v[167:168], v[129:130], v[133:134]
	v_add_f64 v[177:178], v[129:130], -v[133:134]
	v_add_f64 v[179:180], v[131:132], -v[135:136]
	;; [unrolled: 1-line block ×6, first 2 shown]
	v_add_f64 v[169:170], v[141:142], v[145:146]
	v_add_f64 v[171:172], v[137:138], v[149:150]
	;; [unrolled: 1-line block ×4, first 2 shown]
	v_add_f64 v[213:214], v[121:122], -v[129:130]
	v_add_f64 v[215:216], v[125:126], -v[133:134]
	;; [unrolled: 1-line block ×4, first 2 shown]
	s_waitcnt lgkmcnt(0)
	v_add_f64 v[189:190], v[157:158], v[137:138]
	v_add_f64 v[191:192], v[159:160], v[139:140]
	v_fma_f64 v[161:162], v[161:162], -0.5, v[155:156]
	v_fma_f64 v[163:164], v[163:164], -0.5, v[153:154]
	v_add_f64 v[129:130], v[153:154], v[129:130]
	v_add_f64 v[131:132], v[155:156], v[131:132]
	v_fma_f64 v[165:166], v[165:166], -0.5, v[155:156]
	v_fma_f64 v[167:168], v[167:168], -0.5, v[153:154]
	v_add_f64 v[185:186], v[137:138], -v[141:142]
	v_add_f64 v[193:194], v[139:140], -v[143:144]
	;; [unrolled: 1-line block ×8, first 2 shown]
	v_fma_f64 v[153:154], v[171:172], -0.5, v[157:158]
	v_fma_f64 v[155:156], v[169:170], -0.5, v[157:158]
	;; [unrolled: 1-line block ×4, first 2 shown]
	v_add_f64 v[169:170], v[197:198], v[199:200]
	v_add_f64 v[171:172], v[201:202], v[203:204]
	v_add_f64 v[187:188], v[149:150], -v[145:146]
	v_add_f64 v[197:198], v[213:214], v[215:216]
	v_fma_f64 v[217:218], v[177:178], s[12:13], v[161:162]
	v_fma_f64 v[219:220], v[179:180], s[6:7], v[163:164]
	;; [unrolled: 1-line block ×8, first 2 shown]
	v_add_f64 v[199:200], v[221:222], v[223:224]
	v_add_f64 v[141:142], v[189:190], v[141:142]
	v_add_f64 v[143:144], v[191:192], v[143:144]
	v_add_f64 v[121:122], v[129:130], v[121:122]
	v_add_f64 v[123:124], v[131:132], v[123:124]
	v_add_f64 v[195:196], v[151:152], -v[147:148]
	v_add_f64 v[211:212], v[147:148], -v[151:152]
	v_fma_f64 v[129:130], v[231:232], s[12:13], v[153:154]
	v_fma_f64 v[131:132], v[231:232], s[6:7], v[153:154]
	;; [unrolled: 1-line block ×3, first 2 shown]
	v_add_f64 v[207:208], v[145:146], -v[149:150]
	v_fma_f64 v[155:156], v[139:140], s[12:13], v[155:156]
	v_fma_f64 v[173:174], v[181:182], s[16:17], v[217:218]
	;; [unrolled: 1-line block ×12, first 2 shown]
	v_add_f64 v[177:178], v[185:186], v[187:188]
	v_fma_f64 v[157:158], v[137:138], s[6:7], v[157:158]
	v_add_f64 v[141:142], v[141:142], v[145:146]
	v_add_f64 v[143:144], v[143:144], v[147:148]
	v_add_f64 v[121:122], v[121:122], v[125:126]
	v_add_f64 v[123:124], v[123:124], v[127:128]
	v_add_f64 v[179:180], v[193:194], v[195:196]
	v_fma_f64 v[125:126], v[139:140], s[8:9], v[129:130]
	v_fma_f64 v[127:128], v[139:140], s[16:17], v[131:132]
	v_fma_f64 v[129:130], v[231:232], s[8:9], v[153:154]
	v_fma_f64 v[153:154], v[231:232], s[16:17], v[155:156]
	v_fma_f64 v[173:174], v[171:172], s[14:15], v[173:174]
	v_fma_f64 v[175:176], v[169:170], s[14:15], v[175:176]
	v_fma_f64 v[163:164], v[169:170], s[14:15], v[163:164]
	v_fma_f64 v[161:162], v[171:172], s[14:15], v[161:162]
	v_fma_f64 v[185:186], v[199:200], s[14:15], v[201:202]
	v_fma_f64 v[187:188], v[197:198], s[14:15], v[203:204]
	v_fma_f64 v[167:168], v[197:198], s[14:15], v[167:168]
	v_fma_f64 v[165:166], v[199:200], s[14:15], v[165:166]
	v_add_f64 v[171:172], v[209:210], v[211:212]
	v_fma_f64 v[131:132], v[229:230], s[16:17], v[181:182]
	v_fma_f64 v[139:140], v[137:138], s[16:17], v[183:184]
	;; [unrolled: 1-line block ×3, first 2 shown]
	v_add_f64 v[169:170], v[205:206], v[207:208]
	v_fma_f64 v[155:156], v[229:230], s[8:9], v[157:158]
	v_add_f64 v[141:142], v[141:142], v[149:150]
	v_add_f64 v[143:144], v[143:144], v[151:152]
	;; [unrolled: 1-line block ×4, first 2 shown]
	v_fma_f64 v[151:152], v[177:178], s[14:15], v[129:130]
	v_mul_f64 v[145:146], v[173:174], s[8:9]
	v_mul_f64 v[147:148], v[175:176], s[16:17]
	;; [unrolled: 1-line block ×8, first 2 shown]
	v_fma_f64 v[193:194], v[179:180], s[14:15], v[131:132]
	v_fma_f64 v[195:196], v[171:172], s[14:15], v[139:140]
	;; [unrolled: 1-line block ×5, first 2 shown]
	v_add_f64 v[121:122], v[141:142], v[133:134]
	v_add_f64 v[123:124], v[143:144], v[135:136]
	v_add_f64 v[125:126], v[141:142], -v[133:134]
	v_add_f64 v[127:128], v[143:144], -v[135:136]
	v_fma_f64 v[137:138], v[175:176], s[18:19], v[145:146]
	v_fma_f64 v[139:140], v[173:174], s[18:19], v[147:148]
	;; [unrolled: 1-line block ×10, first 2 shown]
	v_add_co_u32 v161, vcc_lo, 0x3e80, v117
	v_add_co_ci_u32_e32 v162, vcc_lo, 0, v118, vcc_lo
	v_add_co_u32 v163, vcc_lo, 0x4800, v117
	v_add_co_ci_u32_e32 v164, vcc_lo, 0, v118, vcc_lo
	;; [unrolled: 2-line block ×3, first 2 shown]
	v_add_f64 v[129:130], v[151:152], v[137:138]
	v_add_f64 v[131:132], v[193:194], v[139:140]
	v_add_f64 v[133:134], v[151:152], -v[137:138]
	v_add_f64 v[135:136], v[193:194], -v[139:140]
	v_add_f64 v[137:138], v[149:150], v[145:146]
	v_add_f64 v[139:140], v[195:196], v[147:148]
	v_add_f64 v[141:142], v[149:150], -v[145:146]
	v_add_f64 v[143:144], v[195:196], -v[147:148]
	v_add_f64 v[145:146], v[169:170], v[153:154]
	v_add_f64 v[147:148], v[171:172], v[155:156]
	;; [unrolled: 1-line block ×4, first 2 shown]
	v_add_f64 v[153:154], v[169:170], -v[153:154]
	v_add_f64 v[155:156], v[171:172], -v[155:156]
	;; [unrolled: 1-line block ×4, first 2 shown]
	v_add_co_u32 v167, vcc_lo, 0x5800, v117
	v_add_co_ci_u32_e32 v168, vcc_lo, 0, v118, vcc_lo
	v_add_co_u32 v169, vcc_lo, 0x6000, v117
	v_add_co_ci_u32_e32 v170, vcc_lo, 0, v118, vcc_lo
	ds_write_b128 v115, v[121:124]
	ds_write_b128 v115, v[125:128] offset:8000
	ds_write_b128 v115, v[129:132] offset:1600
	;; [unrolled: 1-line block ×9, first 2 shown]
	s_waitcnt lgkmcnt(0)
	s_barrier
	buffer_gl0_inv
	s_clause 0x1
	global_load_dwordx4 v[121:124], v[113:114], off offset:1664
	global_load_dwordx4 v[125:128], v[161:162], off offset:1600
	v_add_co_u32 v113, vcc_lo, 0x6800, v117
	v_add_co_ci_u32_e32 v114, vcc_lo, 0, v118, vcc_lo
	v_add_co_u32 v117, vcc_lo, 0x7000, v117
	s_clause 0x3
	global_load_dwordx4 v[129:132], v[163:164], off offset:768
	global_load_dwordx4 v[133:136], v[165:166], off offset:320
	global_load_dwordx4 v[137:140], v[165:166], off offset:1920
	global_load_dwordx4 v[141:144], v[167:168], off offset:1472
	v_add_co_ci_u32_e32 v118, vcc_lo, 0, v118, vcc_lo
	s_clause 0x3
	global_load_dwordx4 v[145:148], v[169:170], off offset:1024
	global_load_dwordx4 v[149:152], v[113:114], off offset:576
	global_load_dwordx4 v[153:156], v[117:118], off offset:128
	global_load_dwordx4 v[157:160], v[117:118], off offset:1728
	ds_read_b128 v[161:164], v115
	ds_read_b128 v[165:168], v115 offset:1600
	ds_read_b128 v[169:172], v115 offset:3200
	;; [unrolled: 1-line block ×9, first 2 shown]
	s_waitcnt vmcnt(9) lgkmcnt(9)
	v_mul_f64 v[113:114], v[163:164], v[123:124]
	v_mul_f64 v[117:118], v[161:162], v[123:124]
	s_waitcnt vmcnt(8) lgkmcnt(8)
	v_mul_f64 v[123:124], v[167:168], v[127:128]
	v_mul_f64 v[127:128], v[165:166], v[127:128]
	;; [unrolled: 3-line block ×10, first 2 shown]
	v_fma_f64 v[159:160], v[161:162], v[121:122], -v[113:114]
	v_fma_f64 v[161:162], v[163:164], v[121:122], v[117:118]
	v_fma_f64 v[121:122], v[165:166], v[125:126], -v[123:124]
	v_fma_f64 v[123:124], v[167:168], v[125:126], v[127:128]
	;; [unrolled: 2-line block ×10, first 2 shown]
	ds_write_b128 v115, v[159:162]
	ds_write_b128 v115, v[121:124] offset:1600
	ds_write_b128 v115, v[125:128] offset:3200
	;; [unrolled: 1-line block ×9, first 2 shown]
	s_waitcnt lgkmcnt(0)
	s_barrier
	buffer_gl0_inv
	ds_read_b128 v[121:124], v115 offset:8000
	ds_read_b128 v[125:128], v115 offset:11200
	;; [unrolled: 1-line block ×5, first 2 shown]
	ds_read_b128 v[141:144], v115
	ds_read_b128 v[145:148], v115 offset:6400
	ds_read_b128 v[149:152], v115 offset:9600
	;; [unrolled: 1-line block ×4, first 2 shown]
	s_waitcnt lgkmcnt(0)
	s_barrier
	buffer_gl0_inv
	v_add_f64 v[113:114], v[123:124], v[127:128]
	v_add_f64 v[117:118], v[121:122], v[125:126]
	;; [unrolled: 1-line block ×3, first 2 shown]
	v_add_f64 v[169:170], v[131:132], -v[135:136]
	v_add_f64 v[171:172], v[129:130], -v[133:134]
	v_add_f64 v[173:174], v[129:130], v[133:134]
	v_add_f64 v[175:176], v[121:122], -v[125:126]
	v_add_f64 v[163:164], v[141:142], v[137:138]
	v_add_f64 v[167:168], v[145:146], v[149:150]
	v_add_f64 v[177:178], v[137:138], v[157:158]
	v_add_f64 v[179:180], v[147:148], v[151:152]
	v_add_f64 v[181:182], v[139:140], v[159:160]
	v_add_f64 v[195:196], v[123:124], -v[127:128]
	v_add_f64 v[197:198], v[129:130], -v[121:122]
	;; [unrolled: 1-line block ×7, first 2 shown]
	v_add_f64 v[165:166], v[143:144], v[139:140]
	v_add_f64 v[131:132], v[155:156], v[131:132]
	v_add_f64 v[183:184], v[147:148], -v[151:152]
	v_fma_f64 v[113:114], v[113:114], -0.5, v[155:156]
	v_fma_f64 v[117:118], v[117:118], -0.5, v[153:154]
	;; [unrolled: 1-line block ×3, first 2 shown]
	v_add_f64 v[185:186], v[137:138], -v[145:146]
	v_add_f64 v[187:188], v[145:146], -v[137:138]
	v_fma_f64 v[173:174], v[173:174], -0.5, v[153:154]
	v_add_f64 v[153:154], v[153:154], v[129:130]
	v_add_f64 v[189:190], v[145:146], -v[149:150]
	v_add_f64 v[191:192], v[139:140], -v[147:148]
	;; [unrolled: 1-line block ×7, first 2 shown]
	v_fma_f64 v[177:178], v[177:178], -0.5, v[141:142]
	v_add_f64 v[145:146], v[163:164], v[145:146]
	v_fma_f64 v[141:142], v[167:168], -0.5, v[141:142]
	v_fma_f64 v[163:164], v[179:180], -0.5, v[143:144]
	;; [unrolled: 1-line block ×3, first 2 shown]
	v_add_f64 v[167:168], v[197:198], v[203:204]
	v_add_f64 v[179:180], v[199:200], v[205:206]
	v_add_f64 v[129:130], v[121:122], -v[129:130]
	v_fma_f64 v[207:208], v[171:172], s[6:7], v[113:114]
	v_fma_f64 v[209:210], v[169:170], s[12:13], v[117:118]
	;; [unrolled: 1-line block ×5, first 2 shown]
	v_add_f64 v[221:222], v[125:126], -v[133:134]
	v_add_f64 v[199:200], v[201:202], v[211:212]
	v_fma_f64 v[201:202], v[195:196], s[6:7], v[173:174]
	v_add_f64 v[147:148], v[165:166], v[147:148]
	v_fma_f64 v[165:166], v[195:196], s[12:13], v[173:174]
	v_fma_f64 v[117:118], v[169:170], s[6:7], v[117:118]
	v_add_f64 v[121:122], v[153:154], v[121:122]
	v_add_f64 v[123:124], v[131:132], v[123:124]
	;; [unrolled: 1-line block ×4, first 2 shown]
	v_fma_f64 v[173:174], v[183:184], s[12:13], v[177:178]
	v_add_f64 v[217:218], v[149:150], -v[157:158]
	v_add_f64 v[155:156], v[151:152], -v[159:160]
	v_fma_f64 v[185:186], v[189:190], s[12:13], v[143:144]
	v_fma_f64 v[143:144], v[189:190], s[6:7], v[143:144]
	v_add_f64 v[145:146], v[145:146], v[149:150]
	v_fma_f64 v[181:182], v[175:176], s[8:9], v[207:208]
	v_fma_f64 v[197:198], v[195:196], s[16:17], v[209:210]
	v_fma_f64 v[203:204], v[171:172], s[8:9], v[213:214]
	v_fma_f64 v[161:162], v[171:172], s[16:17], v[161:162]
	v_fma_f64 v[113:114], v[175:176], s[16:17], v[113:114]
	v_fma_f64 v[171:172], v[183:184], s[6:7], v[177:178]
	v_fma_f64 v[175:176], v[139:140], s[12:13], v[141:142]
	v_fma_f64 v[177:178], v[137:138], s[6:7], v[163:164]
	v_add_f64 v[129:130], v[129:130], v[221:222]
	v_fma_f64 v[163:164], v[137:138], s[12:13], v[163:164]
	v_fma_f64 v[165:166], v[169:170], s[8:9], v[165:166]
	;; [unrolled: 1-line block ×4, first 2 shown]
	v_add_f64 v[147:148], v[147:148], v[151:152]
	v_add_f64 v[121:122], v[121:122], v[125:126]
	;; [unrolled: 1-line block ×3, first 2 shown]
	v_fma_f64 v[127:128], v[139:140], s[8:9], v[173:174]
	v_add_f64 v[187:188], v[187:188], v[217:218]
	v_fma_f64 v[151:152], v[137:138], s[8:9], v[185:186]
	v_fma_f64 v[137:138], v[137:138], s[16:17], v[143:144]
	v_add_f64 v[155:156], v[193:194], v[155:156]
	v_add_f64 v[145:146], v[145:146], v[157:158]
	v_fma_f64 v[181:182], v[179:180], s[14:15], v[181:182]
	v_fma_f64 v[191:192], v[167:168], s[14:15], v[197:198]
	;; [unrolled: 1-line block ×12, first 2 shown]
	v_add_f64 v[147:148], v[147:148], v[159:160]
	v_add_f64 v[133:134], v[121:122], v[133:134]
	;; [unrolled: 1-line block ×3, first 2 shown]
	v_fma_f64 v[151:152], v[155:156], s[14:15], v[151:152]
	v_fma_f64 v[155:156], v[155:156], s[14:15], v[137:138]
	v_mul_f64 v[143:144], v[181:182], s[16:17]
	v_mul_f64 v[169:170], v[191:192], s[8:9]
	v_fma_f64 v[171:172], v[129:130], s[14:15], v[197:198]
	v_mul_f64 v[173:174], v[201:202], s[12:13]
	v_mul_f64 v[175:176], v[201:202], s[14:15]
	;; [unrolled: 3-line block ×3, first 2 shown]
	v_mul_f64 v[167:168], v[113:114], s[16:17]
	v_mul_f64 v[113:114], v[113:114], s[22:23]
	v_fma_f64 v[139:140], v[131:132], s[14:15], v[139:140]
	v_fma_f64 v[149:150], v[153:154], s[14:15], v[149:150]
	;; [unrolled: 1-line block ×4, first 2 shown]
	v_add_f64 v[121:122], v[145:146], v[133:134]
	v_add_f64 v[123:124], v[147:148], v[135:136]
	v_add_f64 v[125:126], v[145:146], -v[133:134]
	v_fma_f64 v[143:144], v[191:192], s[18:19], v[143:144]
	v_fma_f64 v[159:160], v[181:182], s[18:19], v[169:170]
	;; [unrolled: 1-line block ×10, first 2 shown]
	v_add_f64 v[127:128], v[147:148], -v[135:136]
	v_add_f64 v[129:130], v[139:140], v[143:144]
	v_add_f64 v[131:132], v[149:150], v[159:160]
	v_add_f64 v[133:134], v[139:140], -v[143:144]
	v_add_f64 v[137:138], v[157:158], v[173:174]
	v_add_f64 v[139:140], v[151:152], v[171:172]
	;; [unrolled: 3-line block ×4, first 2 shown]
	v_add_f64 v[141:142], v[157:158], -v[173:174]
	v_add_f64 v[153:154], v[169:170], -v[153:154]
	;; [unrolled: 1-line block ×5, first 2 shown]
	ds_write_b128 v119, v[121:124]
	ds_write_b128 v119, v[125:128] offset:80
	ds_write_b128 v119, v[129:132] offset:16
	;; [unrolled: 1-line block ×9, first 2 shown]
	s_waitcnt lgkmcnt(0)
	s_barrier
	buffer_gl0_inv
	ds_read_b128 v[121:124], v115 offset:8000
	ds_read_b128 v[125:128], v115 offset:11200
	;; [unrolled: 1-line block ×9, first 2 shown]
	ds_read_b128 v[157:160], v115
	s_waitcnt lgkmcnt(0)
	s_barrier
	buffer_gl0_inv
	v_mul_f64 v[113:114], v[82:83], v[121:122]
	v_mul_f64 v[117:118], v[78:79], v[125:126]
	;; [unrolled: 1-line block ×18, first 2 shown]
	v_fma_f64 v[113:114], v[80:81], v[123:124], -v[113:114]
	v_fma_f64 v[117:118], v[76:77], v[127:128], -v[117:118]
	;; [unrolled: 1-line block ×4, first 2 shown]
	v_fma_f64 v[131:132], v[108:109], v[137:138], v[165:166]
	v_fma_f64 v[108:109], v[108:109], v[139:140], -v[110:111]
	v_fma_f64 v[110:111], v[88:89], v[143:144], -v[167:168]
	v_fma_f64 v[84:85], v[84:85], v[129:130], v[86:87]
	v_fma_f64 v[80:81], v[80:81], v[121:122], v[82:83]
	;; [unrolled: 1-line block ×5, first 2 shown]
	v_fma_f64 v[104:105], v[104:105], v[147:148], -v[106:107]
	v_fma_f64 v[82:83], v[100:101], v[149:150], v[171:172]
	v_fma_f64 v[100:101], v[100:101], v[151:152], -v[102:103]
	v_fma_f64 v[88:89], v[88:89], v[141:142], v[90:91]
	v_fma_f64 v[106:107], v[96:97], v[153:154], v[173:174]
	v_fma_f64 v[96:97], v[96:97], v[155:156], -v[98:99]
	v_add_f64 v[92:93], v[113:114], v[117:118]
	v_add_f64 v[155:156], v[123:124], -v[113:114]
	v_add_f64 v[94:95], v[123:124], v[127:128]
	v_add_f64 v[133:134], v[157:158], v[131:132]
	;; [unrolled: 1-line block ×3, first 2 shown]
	v_add_f64 v[161:162], v[127:128], -v[117:118]
	v_add_f64 v[163:164], v[123:124], -v[127:128]
	;; [unrolled: 1-line block ×3, first 2 shown]
	v_add_f64 v[125:126], v[80:81], v[76:77]
	v_add_f64 v[129:130], v[84:85], -v[78:79]
	v_add_f64 v[135:136], v[80:81], -v[76:77]
	v_add_f64 v[137:138], v[84:85], v[78:79]
	v_add_f64 v[90:91], v[86:87], v[82:83]
	;; [unrolled: 1-line block ×6, first 2 shown]
	v_add_f64 v[175:176], v[117:118], -v[127:128]
	v_add_f64 v[143:144], v[131:132], -v[86:87]
	;; [unrolled: 1-line block ×5, first 2 shown]
	v_fma_f64 v[92:93], v[92:93], -0.5, v[110:111]
	v_add_f64 v[153:154], v[78:79], -v[76:77]
	v_fma_f64 v[94:95], v[94:95], -0.5, v[110:111]
	v_add_f64 v[110:111], v[110:111], v[123:124]
	v_add_f64 v[123:124], v[113:114], -v[123:124]
	v_add_f64 v[167:168], v[108:109], -v[96:97]
	;; [unrolled: 1-line block ×4, first 2 shown]
	v_fma_f64 v[125:126], v[125:126], -0.5, v[88:89]
	v_add_f64 v[177:178], v[86:87], -v[82:83]
	v_add_f64 v[131:132], v[86:87], -v[131:132]
	v_fma_f64 v[88:89], v[137:138], -0.5, v[88:89]
	v_add_f64 v[108:109], v[104:105], -v[108:109]
	v_fma_f64 v[90:91], v[90:91], -0.5, v[157:158]
	v_fma_f64 v[102:103], v[102:103], -0.5, v[159:160]
	v_add_f64 v[86:87], v[133:134], v[86:87]
	v_add_f64 v[104:105], v[139:140], v[104:105]
	;; [unrolled: 1-line block ×3, first 2 shown]
	v_add_f64 v[149:150], v[96:97], -v[100:101]
	v_add_f64 v[84:85], v[80:81], -v[84:85]
	;; [unrolled: 1-line block ×3, first 2 shown]
	v_fma_f64 v[98:99], v[98:99], -0.5, v[157:158]
	v_fma_f64 v[173:174], v[129:130], s[6:7], v[92:93]
	v_fma_f64 v[92:93], v[129:130], s[12:13], v[92:93]
	;; [unrolled: 1-line block ×4, first 2 shown]
	v_fma_f64 v[121:122], v[121:122], -0.5, v[159:160]
	v_add_f64 v[80:81], v[141:142], v[80:81]
	v_add_f64 v[123:124], v[123:124], v[175:176]
	;; [unrolled: 1-line block ×3, first 2 shown]
	v_fma_f64 v[139:140], v[163:164], s[12:13], v[125:126]
	v_fma_f64 v[113:114], v[163:164], s[6:7], v[125:126]
	v_add_f64 v[125:126], v[143:144], v[145:146]
	v_fma_f64 v[141:142], v[165:166], s[6:7], v[88:89]
	v_fma_f64 v[88:89], v[165:166], s[12:13], v[88:89]
	v_fma_f64 v[143:144], v[167:168], s[12:13], v[90:91]
	v_fma_f64 v[145:146], v[171:172], s[6:7], v[102:103]
	v_add_f64 v[179:180], v[82:83], -v[106:107]
	v_add_f64 v[181:182], v[100:101], -v[96:97]
	v_fma_f64 v[90:91], v[167:168], s[6:7], v[90:91]
	v_fma_f64 v[102:103], v[171:172], s[12:13], v[102:103]
	v_add_f64 v[82:83], v[86:87], v[82:83]
	v_add_f64 v[84:85], v[84:85], v[183:184]
	v_fma_f64 v[155:156], v[135:136], s[8:9], v[173:174]
	v_fma_f64 v[92:93], v[135:136], s[16:17], v[92:93]
	;; [unrolled: 1-line block ×4, first 2 shown]
	v_add_f64 v[135:136], v[151:152], v[153:154]
	v_add_f64 v[129:130], v[147:148], v[149:150]
	v_fma_f64 v[147:148], v[169:170], s[6:7], v[98:99]
	v_fma_f64 v[149:150], v[177:178], s[12:13], v[121:122]
	;; [unrolled: 1-line block ×8, first 2 shown]
	v_add_f64 v[76:77], v[80:81], v[76:77]
	v_add_f64 v[80:81], v[110:111], v[117:118]
	;; [unrolled: 1-line block ×4, first 2 shown]
	v_fma_f64 v[90:91], v[169:170], s[8:9], v[90:91]
	v_fma_f64 v[102:103], v[177:178], s[16:17], v[102:103]
	v_add_f64 v[82:83], v[82:83], v[106:107]
	v_fma_f64 v[151:152], v[133:134], s[14:15], v[155:156]
	v_fma_f64 v[86:87], v[133:134], s[14:15], v[92:93]
	;; [unrolled: 1-line block ×4, first 2 shown]
	v_add_f64 v[92:93], v[104:105], v[100:101]
	v_fma_f64 v[100:101], v[169:170], s[16:17], v[143:144]
	v_fma_f64 v[104:105], v[177:178], s[8:9], v[145:146]
	;; [unrolled: 1-line block ×10, first 2 shown]
	v_add_f64 v[106:107], v[80:81], v[127:128]
	v_mul_f64 v[133:134], v[151:152], s[16:17]
	v_mul_f64 v[139:140], v[151:152], s[18:19]
	v_mul_f64 v[143:144], v[137:138], s[12:13]
	v_mul_f64 v[137:138], v[137:138], s[14:15]
	v_mul_f64 v[113:114], v[94:95], s[12:13]
	v_mul_f64 v[94:95], v[94:95], s[20:21]
	v_mul_f64 v[135:136], v[86:87], s[16:17]
	v_mul_f64 v[86:87], v[86:87], s[22:23]
	v_add_f64 v[92:93], v[92:93], v[96:97]
	v_add_f64 v[96:97], v[76:77], v[78:79]
	v_fma_f64 v[100:101], v[125:126], s[14:15], v[100:101]
	v_fma_f64 v[104:105], v[129:130], s[14:15], v[104:105]
	;; [unrolled: 1-line block ×16, first 2 shown]
	v_add_f64 v[78:79], v[92:93], v[106:107]
	v_add_f64 v[76:77], v[82:83], v[96:97]
	v_add_f64 v[80:81], v[82:83], -v[96:97]
	v_add_f64 v[82:83], v[92:93], -v[106:107]
	v_add_f64 v[84:85], v[100:101], v[127:128]
	v_add_f64 v[86:87], v[104:105], v[123:124]
	v_add_f64 v[92:93], v[110:111], v[98:99]
	v_add_f64 v[94:95], v[117:118], v[108:109]
	v_add_f64 v[88:89], v[100:101], -v[127:128]
	v_add_f64 v[100:101], v[131:132], v[113:114]
	v_add_f64 v[102:103], v[121:122], v[133:134]
	v_add_f64 v[90:91], v[104:105], -v[123:124]
	v_add_f64 v[104:105], v[125:126], v[135:136]
	v_add_f64 v[106:107], v[129:130], v[137:138]
	v_add_f64 v[96:97], v[110:111], -v[98:99]
	v_add_f64 v[98:99], v[117:118], -v[108:109]
	;; [unrolled: 1-line block ×6, first 2 shown]
	ds_write_b128 v120, v[76:79]
	ds_write_b128 v120, v[80:83] offset:800
	ds_write_b128 v120, v[84:87] offset:160
	;; [unrolled: 1-line block ×9, first 2 shown]
	s_waitcnt lgkmcnt(0)
	s_barrier
	buffer_gl0_inv
	ds_read_b128 v[76:79], v115 offset:8000
	ds_read_b128 v[80:83], v115 offset:11200
	;; [unrolled: 1-line block ×9, first 2 shown]
	ds_read_b128 v[117:120], v115
	s_waitcnt lgkmcnt(9)
	v_mul_f64 v[113:114], v[46:47], v[76:77]
	s_waitcnt lgkmcnt(8)
	v_mul_f64 v[121:122], v[42:43], v[80:81]
	;; [unrolled: 2-line block ×4, first 2 shown]
	v_mul_f64 v[50:51], v[50:51], v[90:91]
	v_mul_f64 v[46:47], v[46:47], v[78:79]
	v_mul_f64 v[42:43], v[42:43], v[82:83]
	v_mul_f64 v[58:59], v[58:59], v[86:87]
	s_waitcnt lgkmcnt(1)
	v_mul_f64 v[135:136], v[54:55], v[108:109]
	v_mul_f64 v[127:128], v[74:75], v[106:107]
	;; [unrolled: 1-line block ×10, first 2 shown]
	v_fma_f64 v[78:79], v[44:45], v[78:79], -v[113:114]
	v_fma_f64 v[82:83], v[40:41], v[82:83], -v[121:122]
	;; [unrolled: 1-line block ×4, first 2 shown]
	v_fma_f64 v[48:49], v[48:49], v[88:89], v[50:51]
	v_fma_f64 v[44:45], v[44:45], v[76:77], v[46:47]
	;; [unrolled: 1-line block ×4, first 2 shown]
	v_fma_f64 v[50:51], v[52:53], v[110:111], -v[135:136]
	v_mad_u64_u32 v[113:114], null, s2, v112, 0
	v_fma_f64 v[104:105], v[72:73], v[104:105], v[127:128]
	v_fma_f64 v[72:73], v[72:73], v[106:107], -v[74:75]
	v_fma_f64 v[74:75], v[68:69], v[100:101], v[129:130]
	v_fma_f64 v[68:69], v[68:69], v[102:103], -v[70:71]
	;; [unrolled: 2-line block ×4, first 2 shown]
	v_mov_b32_e32 v62, v114
	v_fma_f64 v[52:53], v[52:53], v[108:109], v[54:55]
	v_mad_u64_u32 v[46:47], null, s0, v116, 0
	v_add_f64 v[56:57], v[78:79], v[82:83]
	v_mad_u64_u32 v[54:55], null, s3, v112, v[62:63]
	v_add_f64 v[58:59], v[90:91], v[86:87]
	v_add_f64 v[135:136], v[90:91], -v[78:79]
	v_add_f64 v[94:95], v[44:45], v[40:41]
	v_add_f64 v[96:97], v[48:49], v[42:43]
	v_add_f64 v[98:99], v[48:49], -v[42:43]
	v_add_f64 v[100:101], v[44:45], -v[40:41]
	;; [unrolled: 1-line block ×7, first 2 shown]
	v_add_f64 v[62:63], v[74:75], v[70:71]
	v_add_f64 v[80:81], v[68:69], v[64:65]
	;; [unrolled: 1-line block ×4, first 2 shown]
	v_add_f64 v[92:93], v[66:67], -v[70:71]
	v_add_f64 v[106:107], v[70:71], -v[66:67]
	v_add_f64 v[129:130], v[52:53], v[48:49]
	v_add_f64 v[139:140], v[78:79], -v[90:91]
	v_fma_f64 v[55:56], v[56:57], -0.5, v[50:51]
	v_add_f64 v[141:142], v[82:83], -v[86:87]
	s_waitcnt lgkmcnt(0)
	v_add_f64 v[121:122], v[117:118], v[104:105]
	v_fma_f64 v[57:58], v[58:59], -0.5, v[50:51]
	v_add_f64 v[123:124], v[119:120], v[72:73]
	v_fma_f64 v[94:95], v[94:95], -0.5, v[52:53]
	v_fma_f64 v[52:53], v[96:97], -0.5, v[52:53]
	v_add_f64 v[50:51], v[50:51], v[90:91]
	v_add_f64 v[108:109], v[72:73], -v[68:69]
	v_add_f64 v[125:126], v[68:69], -v[72:73]
	v_add_f64 v[131:132], v[48:49], -v[44:45]
	v_add_f64 v[133:134], v[42:43], -v[40:41]
	v_add_f64 v[48:49], v[44:45], -v[48:49]
	v_add_f64 v[90:91], v[40:41], -v[42:43]
	v_add_f64 v[72:73], v[72:73], -v[60:61]
	v_add_f64 v[149:150], v[68:69], -v[64:65]
	v_add_f64 v[104:105], v[104:105], -v[66:67]
	v_fma_f64 v[62:63], v[62:63], -0.5, v[117:118]
	v_fma_f64 v[76:77], v[76:77], -0.5, v[117:118]
	v_fma_f64 v[80:81], v[80:81], -0.5, v[119:120]
	v_fma_f64 v[84:85], v[84:85], -0.5, v[119:120]
	v_add_f64 v[88:89], v[88:89], v[92:93]
	v_fma_f64 v[96:97], v[98:99], s[6:7], v[55:56]
	v_fma_f64 v[55:56], v[98:99], s[12:13], v[55:56]
	v_add_f64 v[92:93], v[102:103], v[106:107]
	v_fma_f64 v[147:148], v[100:101], s[12:13], v[57:58]
	v_fma_f64 v[57:58], v[100:101], s[6:7], v[57:58]
	;; [unrolled: 3-line block ×3, first 2 shown]
	v_fma_f64 v[52:53], v[145:146], s[12:13], v[52:53]
	v_add_f64 v[151:152], v[74:75], -v[70:71]
	v_add_f64 v[106:107], v[139:140], v[141:142]
	v_fma_f64 v[94:95], v[143:144], s[6:7], v[94:95]
	v_add_f64 v[44:45], v[129:130], v[44:45]
	v_add_f64 v[74:75], v[121:122], v[74:75]
	;; [unrolled: 1-line block ×4, first 2 shown]
	v_add_f64 v[110:111], v[60:61], -v[64:65]
	v_add_f64 v[48:49], v[48:49], v[90:91]
	v_fma_f64 v[78:79], v[72:73], s[12:13], v[62:63]
	v_fma_f64 v[90:91], v[149:150], s[6:7], v[76:77]
	;; [unrolled: 1-line block ×3, first 2 shown]
	v_add_f64 v[127:128], v[64:65], -v[60:61]
	v_fma_f64 v[96:97], v[100:101], s[8:9], v[96:97]
	v_fma_f64 v[55:56], v[100:101], s[16:17], v[55:56]
	;; [unrolled: 1-line block ×5, first 2 shown]
	v_add_f64 v[98:99], v[131:132], v[133:134]
	v_fma_f64 v[80:81], v[104:105], s[12:13], v[80:81]
	v_fma_f64 v[117:118], v[145:146], s[16:17], v[117:118]
	;; [unrolled: 1-line block ×8, first 2 shown]
	v_add_f64 v[70:71], v[74:75], v[70:71]
	v_add_f64 v[64:65], v[68:69], v[64:65]
	;; [unrolled: 1-line block ×4, first 2 shown]
	v_fma_f64 v[50:51], v[149:150], s[16:17], v[78:79]
	v_fma_f64 v[68:69], v[72:73], s[16:17], v[90:91]
	;; [unrolled: 1-line block ×3, first 2 shown]
	v_mov_b32_e32 v114, v54
	v_fma_f64 v[96:97], v[102:103], s[14:15], v[96:97]
	v_fma_f64 v[55:56], v[102:103], s[14:15], v[55:56]
	v_add_f64 v[102:103], v[108:109], v[110:111]
	v_fma_f64 v[123:124], v[106:107], s[14:15], v[135:136]
	v_fma_f64 v[57:58], v[106:107], s[14:15], v[57:58]
	;; [unrolled: 1-line block ×7, first 2 shown]
	v_add_f64 v[106:107], v[125:126], v[127:128]
	v_fma_f64 v[78:79], v[104:105], s[8:9], v[121:122]
	v_fma_f64 v[80:81], v[104:105], s[16:17], v[84:85]
	;; [unrolled: 1-line block ×4, first 2 shown]
	v_add_f64 v[66:67], v[70:71], v[66:67]
	v_add_f64 v[59:60], v[64:65], v[60:61]
	;; [unrolled: 1-line block ×4, first 2 shown]
	v_fma_f64 v[86:87], v[88:89], s[14:15], v[50:51]
	v_fma_f64 v[68:69], v[92:93], s[14:15], v[68:69]
	;; [unrolled: 1-line block ×3, first 2 shown]
	v_mul_f64 v[52:53], v[96:97], s[16:17]
	v_mul_f64 v[96:97], v[96:97], s[18:19]
	;; [unrolled: 1-line block ×8, first 2 shown]
	v_fma_f64 v[74:75], v[102:103], s[14:15], v[74:75]
	v_fma_f64 v[92:93], v[102:103], s[14:15], v[76:77]
	v_mad_u64_u32 v[108:109], null, s1, v116, v[47:48]
	v_fma_f64 v[78:79], v[106:107], s[14:15], v[78:79]
	v_fma_f64 v[80:81], v[106:107], s[14:15], v[80:81]
	;; [unrolled: 1-line block ×3, first 2 shown]
	v_lshlrev_b64 v[102:103], 4, v[113:114]
	s_mulk_i32 s1, 0x640
	v_add_f64 v[40:41], v[66:67], v[64:65]
	v_mov_b32_e32 v47, v108
	v_add_f64 v[42:43], v[59:60], v[70:71]
	v_add_f64 v[44:45], v[66:67], -v[64:65]
	s_mov_b32 s2, 0xd2f1a9fc
	v_fma_f64 v[76:77], v[82:83], s[18:19], v[52:53]
	v_fma_f64 v[82:83], v[82:83], s[8:9], v[96:97]
	;; [unrolled: 1-line block ×8, first 2 shown]
	v_lshlrev_b64 v[104:105], 4, v[46:47]
	v_add_f64 v[46:47], v[59:60], -v[70:71]
	s_mul_hi_u32 s6, s0, 0x640
	s_mulk_i32 s0, 0x640
	s_add_i32 s1, s6, s1
	s_mov_b32 s3, 0x3f50624d
	v_add_f64 v[48:49], v[86:87], v[76:77]
	v_add_f64 v[50:51], v[74:75], v[82:83]
	;; [unrolled: 1-line block ×8, first 2 shown]
	v_add_f64 v[64:65], v[86:87], -v[76:77]
	v_add_f64 v[66:67], v[74:75], -v[82:83]
	;; [unrolled: 1-line block ×8, first 2 shown]
	ds_write_b128 v115, v[40:43]
	ds_write_b128 v115, v[44:47] offset:8000
	ds_write_b128 v115, v[48:51] offset:1600
	;; [unrolled: 1-line block ×9, first 2 shown]
	s_waitcnt lgkmcnt(0)
	s_barrier
	buffer_gl0_inv
	ds_read_b128 v[40:43], v115
	ds_read_b128 v[44:47], v115 offset:1600
	ds_read_b128 v[48:51], v115 offset:3200
	;; [unrolled: 1-line block ×9, first 2 shown]
	v_add_co_u32 v80, vcc_lo, s4, v102
	v_add_co_ci_u32_e32 v81, vcc_lo, s5, v103, vcc_lo
	v_add_co_u32 v80, vcc_lo, v80, v104
	v_add_co_ci_u32_e32 v81, vcc_lo, v81, v105, vcc_lo
	;; [unrolled: 2-line block ×3, first 2 shown]
	s_waitcnt lgkmcnt(7)
	v_mul_f64 v[94:95], v[14:15], v[50:51]
	v_mul_f64 v[90:91], v[6:7], v[42:43]
	;; [unrolled: 1-line block ×6, first 2 shown]
	s_waitcnt lgkmcnt(6)
	v_mul_f64 v[96:97], v[10:11], v[54:55]
	v_mul_f64 v[10:11], v[10:11], v[52:53]
	s_waitcnt lgkmcnt(5)
	v_mul_f64 v[98:99], v[22:23], v[58:59]
	v_mul_f64 v[22:23], v[22:23], v[56:57]
	s_waitcnt lgkmcnt(4)
	v_mul_f64 v[100:101], v[18:19], v[62:63]
	v_mul_f64 v[18:19], v[18:19], v[60:61]
	s_waitcnt lgkmcnt(3)
	v_mul_f64 v[102:103], v[26:27], v[66:67]
	v_mul_f64 v[26:27], v[26:27], v[64:65]
	s_waitcnt lgkmcnt(2)
	v_mul_f64 v[104:105], v[30:31], v[70:71]
	v_mul_f64 v[30:31], v[30:31], v[68:69]
	s_waitcnt lgkmcnt(1)
	v_mul_f64 v[106:107], v[34:35], v[74:75]
	v_mul_f64 v[34:35], v[34:35], v[72:73]
	s_waitcnt lgkmcnt(0)
	v_mul_f64 v[108:109], v[38:39], v[78:79]
	v_mul_f64 v[38:39], v[38:39], v[76:77]
	v_add_co_u32 v84, vcc_lo, v82, s0
	v_add_co_ci_u32_e32 v85, vcc_lo, s1, v83, vcc_lo
	v_fma_f64 v[40:41], v[4:5], v[40:41], v[90:91]
	v_fma_f64 v[4:5], v[4:5], v[42:43], -v[6:7]
	v_fma_f64 v[6:7], v[0:1], v[44:45], v[92:93]
	v_fma_f64 v[42:43], v[0:1], v[46:47], -v[2:3]
	;; [unrolled: 2-line block ×10, first 2 shown]
	v_add_co_u32 v86, vcc_lo, v84, s0
	v_add_co_ci_u32_e32 v87, vcc_lo, s1, v85, vcc_lo
	v_mul_f64 v[0:1], v[40:41], s[2:3]
	v_add_co_u32 v88, vcc_lo, v86, s0
	v_add_co_ci_u32_e32 v89, vcc_lo, s1, v87, vcc_lo
	v_mul_f64 v[2:3], v[4:5], s[2:3]
	v_add_co_u32 v110, vcc_lo, v88, s0
	v_mul_f64 v[4:5], v[6:7], s[2:3]
	v_mul_f64 v[6:7], v[42:43], s[2:3]
	v_add_co_ci_u32_e32 v111, vcc_lo, s1, v89, vcc_lo
	v_mul_f64 v[8:9], v[44:45], s[2:3]
	v_mul_f64 v[10:11], v[12:13], s[2:3]
	;; [unrolled: 1-line block ×6, first 2 shown]
	v_add_co_u32 v60, vcc_lo, v110, s0
	v_mul_f64 v[20:21], v[22:23], s[2:3]
	v_mul_f64 v[22:23], v[50:51], s[2:3]
	;; [unrolled: 1-line block ×4, first 2 shown]
	v_add_co_ci_u32_e32 v61, vcc_lo, s1, v111, vcc_lo
	v_mul_f64 v[28:29], v[54:55], s[2:3]
	v_mul_f64 v[30:31], v[30:31], s[2:3]
	;; [unrolled: 1-line block ×6, first 2 shown]
	v_add_co_u32 v40, vcc_lo, v60, s0
	v_add_co_ci_u32_e32 v41, vcc_lo, s1, v61, vcc_lo
	v_add_co_u32 v42, vcc_lo, v40, s0
	v_add_co_ci_u32_e32 v43, vcc_lo, s1, v41, vcc_lo
	;; [unrolled: 2-line block ×3, first 2 shown]
	global_store_dwordx4 v[80:81], v[0:3], off
	global_store_dwordx4 v[82:83], v[4:7], off
	;; [unrolled: 1-line block ×10, first 2 shown]
.LBB0_2:
	s_endpgm
	.section	.rodata,"a",@progbits
	.p2align	6, 0x0
	.amdhsa_kernel bluestein_single_fwd_len1000_dim1_dp_op_CI_CI
		.amdhsa_group_segment_fixed_size 16000
		.amdhsa_private_segment_fixed_size 0
		.amdhsa_kernarg_size 104
		.amdhsa_user_sgpr_count 6
		.amdhsa_user_sgpr_private_segment_buffer 1
		.amdhsa_user_sgpr_dispatch_ptr 0
		.amdhsa_user_sgpr_queue_ptr 0
		.amdhsa_user_sgpr_kernarg_segment_ptr 1
		.amdhsa_user_sgpr_dispatch_id 0
		.amdhsa_user_sgpr_flat_scratch_init 0
		.amdhsa_user_sgpr_private_segment_size 0
		.amdhsa_wavefront_size32 1
		.amdhsa_uses_dynamic_stack 0
		.amdhsa_system_sgpr_private_segment_wavefront_offset 0
		.amdhsa_system_sgpr_workgroup_id_x 1
		.amdhsa_system_sgpr_workgroup_id_y 0
		.amdhsa_system_sgpr_workgroup_id_z 0
		.amdhsa_system_sgpr_workgroup_info 0
		.amdhsa_system_vgpr_workitem_id 0
		.amdhsa_next_free_vgpr 233
		.amdhsa_next_free_sgpr 24
		.amdhsa_reserve_vcc 1
		.amdhsa_reserve_flat_scratch 0
		.amdhsa_float_round_mode_32 0
		.amdhsa_float_round_mode_16_64 0
		.amdhsa_float_denorm_mode_32 3
		.amdhsa_float_denorm_mode_16_64 3
		.amdhsa_dx10_clamp 1
		.amdhsa_ieee_mode 1
		.amdhsa_fp16_overflow 0
		.amdhsa_workgroup_processor_mode 1
		.amdhsa_memory_ordered 1
		.amdhsa_forward_progress 0
		.amdhsa_shared_vgpr_count 0
		.amdhsa_exception_fp_ieee_invalid_op 0
		.amdhsa_exception_fp_denorm_src 0
		.amdhsa_exception_fp_ieee_div_zero 0
		.amdhsa_exception_fp_ieee_overflow 0
		.amdhsa_exception_fp_ieee_underflow 0
		.amdhsa_exception_fp_ieee_inexact 0
		.amdhsa_exception_int_div_zero 0
	.end_amdhsa_kernel
	.text
.Lfunc_end0:
	.size	bluestein_single_fwd_len1000_dim1_dp_op_CI_CI, .Lfunc_end0-bluestein_single_fwd_len1000_dim1_dp_op_CI_CI
                                        ; -- End function
	.section	.AMDGPU.csdata,"",@progbits
; Kernel info:
; codeLenInByte = 12572
; NumSgprs: 26
; NumVgprs: 233
; ScratchSize: 0
; MemoryBound: 0
; FloatMode: 240
; IeeeMode: 1
; LDSByteSize: 16000 bytes/workgroup (compile time only)
; SGPRBlocks: 3
; VGPRBlocks: 29
; NumSGPRsForWavesPerEU: 26
; NumVGPRsForWavesPerEU: 233
; Occupancy: 4
; WaveLimiterHint : 1
; COMPUTE_PGM_RSRC2:SCRATCH_EN: 0
; COMPUTE_PGM_RSRC2:USER_SGPR: 6
; COMPUTE_PGM_RSRC2:TRAP_HANDLER: 0
; COMPUTE_PGM_RSRC2:TGID_X_EN: 1
; COMPUTE_PGM_RSRC2:TGID_Y_EN: 0
; COMPUTE_PGM_RSRC2:TGID_Z_EN: 0
; COMPUTE_PGM_RSRC2:TIDIG_COMP_CNT: 0
	.text
	.p2alignl 6, 3214868480
	.fill 48, 4, 3214868480
	.type	__hip_cuid_636aa4b0ad156e06,@object ; @__hip_cuid_636aa4b0ad156e06
	.section	.bss,"aw",@nobits
	.globl	__hip_cuid_636aa4b0ad156e06
__hip_cuid_636aa4b0ad156e06:
	.byte	0                               ; 0x0
	.size	__hip_cuid_636aa4b0ad156e06, 1

	.ident	"AMD clang version 19.0.0git (https://github.com/RadeonOpenCompute/llvm-project roc-6.4.0 25133 c7fe45cf4b819c5991fe208aaa96edf142730f1d)"
	.section	".note.GNU-stack","",@progbits
	.addrsig
	.addrsig_sym __hip_cuid_636aa4b0ad156e06
	.amdgpu_metadata
---
amdhsa.kernels:
  - .args:
      - .actual_access:  read_only
        .address_space:  global
        .offset:         0
        .size:           8
        .value_kind:     global_buffer
      - .actual_access:  read_only
        .address_space:  global
        .offset:         8
        .size:           8
        .value_kind:     global_buffer
      - .actual_access:  read_only
        .address_space:  global
        .offset:         16
        .size:           8
        .value_kind:     global_buffer
      - .actual_access:  read_only
        .address_space:  global
        .offset:         24
        .size:           8
        .value_kind:     global_buffer
      - .actual_access:  read_only
        .address_space:  global
        .offset:         32
        .size:           8
        .value_kind:     global_buffer
      - .offset:         40
        .size:           8
        .value_kind:     by_value
      - .address_space:  global
        .offset:         48
        .size:           8
        .value_kind:     global_buffer
      - .address_space:  global
        .offset:         56
        .size:           8
        .value_kind:     global_buffer
      - .address_space:  global
        .offset:         64
        .size:           8
        .value_kind:     global_buffer
      - .address_space:  global
        .offset:         72
        .size:           8
        .value_kind:     global_buffer
      - .offset:         80
        .size:           4
        .value_kind:     by_value
      - .address_space:  global
        .offset:         88
        .size:           8
        .value_kind:     global_buffer
      - .address_space:  global
        .offset:         96
        .size:           8
        .value_kind:     global_buffer
    .group_segment_fixed_size: 16000
    .kernarg_segment_align: 8
    .kernarg_segment_size: 104
    .language:       OpenCL C
    .language_version:
      - 2
      - 0
    .max_flat_workgroup_size: 100
    .name:           bluestein_single_fwd_len1000_dim1_dp_op_CI_CI
    .private_segment_fixed_size: 0
    .sgpr_count:     26
    .sgpr_spill_count: 0
    .symbol:         bluestein_single_fwd_len1000_dim1_dp_op_CI_CI.kd
    .uniform_work_group_size: 1
    .uses_dynamic_stack: false
    .vgpr_count:     233
    .vgpr_spill_count: 0
    .wavefront_size: 32
    .workgroup_processor_mode: 1
amdhsa.target:   amdgcn-amd-amdhsa--gfx1030
amdhsa.version:
  - 1
  - 2
...

	.end_amdgpu_metadata
